;; amdgpu-corpus repo=ROCm/rocFFT kind=compiled arch=gfx906 opt=O3
	.text
	.amdgcn_target "amdgcn-amd-amdhsa--gfx906"
	.amdhsa_code_object_version 6
	.protected	fft_rtc_back_len1320_factors_11_2_3_5_4_wgs_165_tpt_165_sp_op_CI_CI_unitstride_sbrr_R2C_dirReg ; -- Begin function fft_rtc_back_len1320_factors_11_2_3_5_4_wgs_165_tpt_165_sp_op_CI_CI_unitstride_sbrr_R2C_dirReg
	.globl	fft_rtc_back_len1320_factors_11_2_3_5_4_wgs_165_tpt_165_sp_op_CI_CI_unitstride_sbrr_R2C_dirReg
	.p2align	8
	.type	fft_rtc_back_len1320_factors_11_2_3_5_4_wgs_165_tpt_165_sp_op_CI_CI_unitstride_sbrr_R2C_dirReg,@function
fft_rtc_back_len1320_factors_11_2_3_5_4_wgs_165_tpt_165_sp_op_CI_CI_unitstride_sbrr_R2C_dirReg: ; @fft_rtc_back_len1320_factors_11_2_3_5_4_wgs_165_tpt_165_sp_op_CI_CI_unitstride_sbrr_R2C_dirReg
; %bb.0:
	s_load_dwordx4 s[8:11], s[4:5], 0x58
	s_load_dwordx4 s[12:15], s[4:5], 0x0
	;; [unrolled: 1-line block ×3, first 2 shown]
	v_mul_u32_u24_e32 v1, 0x18e, v0
	v_add_u32_sdwa v5, s6, v1 dst_sel:DWORD dst_unused:UNUSED_PAD src0_sel:DWORD src1_sel:WORD_1
	v_mov_b32_e32 v3, 0
	s_waitcnt lgkmcnt(0)
	v_cmp_lt_u64_e64 s[0:1], s[14:15], 2
	v_mov_b32_e32 v1, 0
	v_mov_b32_e32 v6, v3
	s_and_b64 vcc, exec, s[0:1]
	v_mov_b32_e32 v2, 0
	s_cbranch_vccnz .LBB0_8
; %bb.1:
	s_load_dwordx2 s[0:1], s[4:5], 0x10
	s_add_u32 s2, s18, 8
	s_addc_u32 s3, s19, 0
	s_add_u32 s6, s16, 8
	v_mov_b32_e32 v1, 0
	s_addc_u32 s7, s17, 0
	v_mov_b32_e32 v2, 0
	s_waitcnt lgkmcnt(0)
	s_add_u32 s20, s0, 8
	v_mov_b32_e32 v21, v2
	s_addc_u32 s21, s1, 0
	s_mov_b64 s[22:23], 1
	v_mov_b32_e32 v20, v1
.LBB0_2:                                ; =>This Inner Loop Header: Depth=1
	s_load_dwordx2 s[24:25], s[20:21], 0x0
                                        ; implicit-def: $vgpr22_vgpr23
	s_waitcnt lgkmcnt(0)
	v_or_b32_e32 v4, s25, v6
	v_cmp_ne_u64_e32 vcc, 0, v[3:4]
	s_and_saveexec_b64 s[0:1], vcc
	s_xor_b64 s[26:27], exec, s[0:1]
	s_cbranch_execz .LBB0_4
; %bb.3:                                ;   in Loop: Header=BB0_2 Depth=1
	v_cvt_f32_u32_e32 v4, s24
	v_cvt_f32_u32_e32 v7, s25
	s_sub_u32 s0, 0, s24
	s_subb_u32 s1, 0, s25
	v_mac_f32_e32 v4, 0x4f800000, v7
	v_rcp_f32_e32 v4, v4
	v_mul_f32_e32 v4, 0x5f7ffffc, v4
	v_mul_f32_e32 v7, 0x2f800000, v4
	v_trunc_f32_e32 v7, v7
	v_mac_f32_e32 v4, 0xcf800000, v7
	v_cvt_u32_f32_e32 v7, v7
	v_cvt_u32_f32_e32 v4, v4
	v_mul_lo_u32 v8, s0, v7
	v_mul_hi_u32 v9, s0, v4
	v_mul_lo_u32 v11, s1, v4
	v_mul_lo_u32 v10, s0, v4
	v_add_u32_e32 v8, v9, v8
	v_add_u32_e32 v8, v8, v11
	v_mul_hi_u32 v9, v4, v10
	v_mul_lo_u32 v11, v4, v8
	v_mul_hi_u32 v13, v4, v8
	v_mul_hi_u32 v12, v7, v10
	v_mul_lo_u32 v10, v7, v10
	v_mul_hi_u32 v14, v7, v8
	v_add_co_u32_e32 v9, vcc, v9, v11
	v_addc_co_u32_e32 v11, vcc, 0, v13, vcc
	v_mul_lo_u32 v8, v7, v8
	v_add_co_u32_e32 v9, vcc, v9, v10
	v_addc_co_u32_e32 v9, vcc, v11, v12, vcc
	v_addc_co_u32_e32 v10, vcc, 0, v14, vcc
	v_add_co_u32_e32 v8, vcc, v9, v8
	v_addc_co_u32_e32 v9, vcc, 0, v10, vcc
	v_add_co_u32_e32 v4, vcc, v4, v8
	v_addc_co_u32_e32 v7, vcc, v7, v9, vcc
	v_mul_lo_u32 v8, s0, v7
	v_mul_hi_u32 v9, s0, v4
	v_mul_lo_u32 v10, s1, v4
	v_mul_lo_u32 v11, s0, v4
	v_add_u32_e32 v8, v9, v8
	v_add_u32_e32 v8, v8, v10
	v_mul_lo_u32 v12, v4, v8
	v_mul_hi_u32 v13, v4, v11
	v_mul_hi_u32 v14, v4, v8
	v_mul_hi_u32 v10, v7, v11
	v_mul_lo_u32 v11, v7, v11
	v_mul_hi_u32 v9, v7, v8
	v_add_co_u32_e32 v12, vcc, v13, v12
	v_addc_co_u32_e32 v13, vcc, 0, v14, vcc
	v_mul_lo_u32 v8, v7, v8
	v_add_co_u32_e32 v11, vcc, v12, v11
	v_addc_co_u32_e32 v10, vcc, v13, v10, vcc
	v_addc_co_u32_e32 v9, vcc, 0, v9, vcc
	v_add_co_u32_e32 v8, vcc, v10, v8
	v_addc_co_u32_e32 v9, vcc, 0, v9, vcc
	v_add_co_u32_e32 v4, vcc, v4, v8
	v_addc_co_u32_e32 v9, vcc, v7, v9, vcc
	v_mad_u64_u32 v[7:8], s[0:1], v5, v9, 0
	v_mul_hi_u32 v10, v5, v4
	v_add_co_u32_e32 v11, vcc, v10, v7
	v_addc_co_u32_e32 v12, vcc, 0, v8, vcc
	v_mad_u64_u32 v[7:8], s[0:1], v6, v4, 0
	v_mad_u64_u32 v[9:10], s[0:1], v6, v9, 0
	v_add_co_u32_e32 v4, vcc, v11, v7
	v_addc_co_u32_e32 v4, vcc, v12, v8, vcc
	v_addc_co_u32_e32 v7, vcc, 0, v10, vcc
	v_add_co_u32_e32 v4, vcc, v4, v9
	v_addc_co_u32_e32 v9, vcc, 0, v7, vcc
	v_mul_lo_u32 v10, s25, v4
	v_mul_lo_u32 v11, s24, v9
	v_mad_u64_u32 v[7:8], s[0:1], s24, v4, 0
	v_add3_u32 v8, v8, v11, v10
	v_sub_u32_e32 v10, v6, v8
	v_mov_b32_e32 v11, s25
	v_sub_co_u32_e32 v7, vcc, v5, v7
	v_subb_co_u32_e64 v10, s[0:1], v10, v11, vcc
	v_subrev_co_u32_e64 v11, s[0:1], s24, v7
	v_subbrev_co_u32_e64 v10, s[0:1], 0, v10, s[0:1]
	v_cmp_le_u32_e64 s[0:1], s25, v10
	v_cndmask_b32_e64 v12, 0, -1, s[0:1]
	v_cmp_le_u32_e64 s[0:1], s24, v11
	v_cndmask_b32_e64 v11, 0, -1, s[0:1]
	v_cmp_eq_u32_e64 s[0:1], s25, v10
	v_cndmask_b32_e64 v10, v12, v11, s[0:1]
	v_add_co_u32_e64 v11, s[0:1], 2, v4
	v_addc_co_u32_e64 v12, s[0:1], 0, v9, s[0:1]
	v_add_co_u32_e64 v13, s[0:1], 1, v4
	v_addc_co_u32_e64 v14, s[0:1], 0, v9, s[0:1]
	v_subb_co_u32_e32 v8, vcc, v6, v8, vcc
	v_cmp_ne_u32_e64 s[0:1], 0, v10
	v_cmp_le_u32_e32 vcc, s25, v8
	v_cndmask_b32_e64 v10, v14, v12, s[0:1]
	v_cndmask_b32_e64 v12, 0, -1, vcc
	v_cmp_le_u32_e32 vcc, s24, v7
	v_cndmask_b32_e64 v7, 0, -1, vcc
	v_cmp_eq_u32_e32 vcc, s25, v8
	v_cndmask_b32_e32 v7, v12, v7, vcc
	v_cmp_ne_u32_e32 vcc, 0, v7
	v_cndmask_b32_e64 v7, v13, v11, s[0:1]
	v_cndmask_b32_e32 v23, v9, v10, vcc
	v_cndmask_b32_e32 v22, v4, v7, vcc
.LBB0_4:                                ;   in Loop: Header=BB0_2 Depth=1
	s_andn2_saveexec_b64 s[0:1], s[26:27]
	s_cbranch_execz .LBB0_6
; %bb.5:                                ;   in Loop: Header=BB0_2 Depth=1
	v_cvt_f32_u32_e32 v4, s24
	s_sub_i32 s26, 0, s24
	v_mov_b32_e32 v23, v3
	v_rcp_iflag_f32_e32 v4, v4
	v_mul_f32_e32 v4, 0x4f7ffffe, v4
	v_cvt_u32_f32_e32 v4, v4
	v_mul_lo_u32 v7, s26, v4
	v_mul_hi_u32 v7, v4, v7
	v_add_u32_e32 v4, v4, v7
	v_mul_hi_u32 v4, v5, v4
	v_mul_lo_u32 v7, v4, s24
	v_add_u32_e32 v8, 1, v4
	v_sub_u32_e32 v7, v5, v7
	v_subrev_u32_e32 v9, s24, v7
	v_cmp_le_u32_e32 vcc, s24, v7
	v_cndmask_b32_e32 v7, v7, v9, vcc
	v_cndmask_b32_e32 v4, v4, v8, vcc
	v_add_u32_e32 v8, 1, v4
	v_cmp_le_u32_e32 vcc, s24, v7
	v_cndmask_b32_e32 v22, v4, v8, vcc
.LBB0_6:                                ;   in Loop: Header=BB0_2 Depth=1
	s_or_b64 exec, exec, s[0:1]
	v_mul_lo_u32 v4, v23, s24
	v_mul_lo_u32 v9, v22, s25
	v_mad_u64_u32 v[7:8], s[0:1], v22, s24, 0
	s_load_dwordx2 s[0:1], s[6:7], 0x0
	s_load_dwordx2 s[24:25], s[2:3], 0x0
	v_add3_u32 v4, v8, v9, v4
	v_sub_co_u32_e32 v5, vcc, v5, v7
	v_subb_co_u32_e32 v4, vcc, v6, v4, vcc
	s_waitcnt lgkmcnt(0)
	v_mul_lo_u32 v6, s0, v4
	v_mul_lo_u32 v7, s1, v5
	v_mad_u64_u32 v[1:2], s[0:1], s0, v5, v[1:2]
	v_mul_lo_u32 v4, s24, v4
	v_mul_lo_u32 v8, s25, v5
	v_mad_u64_u32 v[20:21], s[0:1], s24, v5, v[20:21]
	s_add_u32 s22, s22, 1
	s_addc_u32 s23, s23, 0
	s_add_u32 s2, s2, 8
	v_add3_u32 v21, v8, v21, v4
	s_addc_u32 s3, s3, 0
	v_mov_b32_e32 v4, s14
	s_add_u32 s6, s6, 8
	v_mov_b32_e32 v5, s15
	s_addc_u32 s7, s7, 0
	v_cmp_ge_u64_e32 vcc, s[22:23], v[4:5]
	s_add_u32 s20, s20, 8
	v_add3_u32 v2, v7, v2, v6
	s_addc_u32 s21, s21, 0
	s_cbranch_vccnz .LBB0_9
; %bb.7:                                ;   in Loop: Header=BB0_2 Depth=1
	v_mov_b32_e32 v5, v22
	v_mov_b32_e32 v6, v23
	s_branch .LBB0_2
.LBB0_8:
	v_mov_b32_e32 v21, v2
	v_mov_b32_e32 v23, v6
	;; [unrolled: 1-line block ×4, first 2 shown]
.LBB0_9:
	s_load_dwordx2 s[4:5], s[4:5], 0x28
	s_lshl_b64 s[6:7], s[14:15], 3
	s_add_u32 s2, s18, s6
	s_addc_u32 s3, s19, s7
                                        ; implicit-def: $vgpr24
	s_waitcnt lgkmcnt(0)
	v_cmp_gt_u64_e64 s[0:1], s[4:5], v[22:23]
	v_cmp_le_u64_e32 vcc, s[4:5], v[22:23]
	s_and_saveexec_b64 s[4:5], vcc
	s_xor_b64 s[4:5], exec, s[4:5]
; %bb.10:
	s_mov_b32 s14, 0x18d3019
	v_mul_hi_u32 v1, v0, s14
	v_mul_u32_u24_e32 v1, 0xa5, v1
	v_sub_u32_e32 v24, v0, v1
                                        ; implicit-def: $vgpr0
                                        ; implicit-def: $vgpr1_vgpr2
; %bb.11:
	s_andn2_saveexec_b64 s[4:5], s[4:5]
	s_cbranch_execz .LBB0_13
; %bb.12:
	s_add_u32 s6, s16, s6
	s_addc_u32 s7, s17, s7
	s_load_dwordx2 s[6:7], s[6:7], 0x0
	s_mov_b32 s14, 0x18d3019
	v_mul_hi_u32 v5, v0, s14
	s_waitcnt lgkmcnt(0)
	v_mul_lo_u32 v6, s7, v22
	v_mul_lo_u32 v7, s6, v23
	v_mad_u64_u32 v[3:4], s[6:7], s6, v22, 0
	v_mul_u32_u24_e32 v5, 0xa5, v5
	v_sub_u32_e32 v24, v0, v5
	v_add3_u32 v4, v4, v7, v6
	v_lshlrev_b64 v[3:4], 3, v[3:4]
	v_mov_b32_e32 v0, s9
	v_add_co_u32_e32 v3, vcc, s8, v3
	v_addc_co_u32_e32 v4, vcc, v0, v4, vcc
	v_lshlrev_b64 v[0:1], 3, v[1:2]
	v_lshlrev_b32_e32 v25, 3, v24
	v_add_co_u32_e32 v0, vcc, v3, v0
	v_addc_co_u32_e32 v1, vcc, v4, v1, vcc
	v_add_co_u32_e32 v0, vcc, v0, v25
	v_addc_co_u32_e32 v1, vcc, 0, v1, vcc
	s_movk_i32 s6, 0x1000
	v_add_co_u32_e32 v10, vcc, s6, v0
	v_addc_co_u32_e32 v11, vcc, 0, v1, vcc
	global_load_dwordx2 v[2:3], v[0:1], off
	global_load_dwordx2 v[4:5], v[0:1], off offset:1320
	global_load_dwordx2 v[6:7], v[0:1], off offset:2640
	;; [unrolled: 1-line block ×3, first 2 shown]
	v_add_co_u32_e32 v0, vcc, 0x2000, v0
	v_addc_co_u32_e32 v1, vcc, 0, v1, vcc
	global_load_dwordx2 v[12:13], v[10:11], off offset:1184
	global_load_dwordx2 v[14:15], v[10:11], off offset:2504
	;; [unrolled: 1-line block ×4, first 2 shown]
	v_add_u32_e32 v0, 0, v25
	v_add_u32_e32 v1, 0x800, v0
	;; [unrolled: 1-line block ×3, first 2 shown]
	s_waitcnt vmcnt(6)
	ds_write2_b64 v0, v[2:3], v[4:5] offset1:165
	s_waitcnt vmcnt(4)
	ds_write2_b64 v1, v[6:7], v[8:9] offset0:74 offset1:239
	s_waitcnt vmcnt(2)
	ds_write2_b64 v10, v[12:13], v[14:15] offset0:20 offset1:185
	v_add_u32_e32 v0, 0x1e00, v0
	s_waitcnt vmcnt(0)
	ds_write2_b64 v0, v[16:17], v[18:19] offset0:30 offset1:195
.LBB0_13:
	s_or_b64 exec, exec, s[4:5]
	v_lshl_add_u32 v31, v24, 3, 0
	s_waitcnt lgkmcnt(0)
	s_barrier
	ds_read2_b64 v[0:3], v31 offset1:120
	ds_read_b64 v[29:30], v31 offset:9600
	v_add_u32_e32 v4, 0x400, v31
	v_add_u32_e32 v8, 0x1c00, v31
	ds_read2_b64 v[4:7], v4 offset0:112 offset1:232
	ds_read2_b64 v[8:11], v8 offset0:64 offset1:184
	s_waitcnt lgkmcnt(2)
	v_sub_f32_e32 v41, v3, v30
	v_add_f32_e32 v34, v29, v2
	s_mov_b32 s6, 0x3ed4b147
	v_mul_f32_e32 v49, 0xbf68dda4, v41
	s_waitcnt lgkmcnt(0)
	v_sub_f32_e32 v44, v5, v11
	v_fma_f32 v12, v34, s6, -v49
	s_mov_b32 s7, 0xbf27a4f4
	v_add_f32_e32 v35, v10, v4
	v_mul_f32_e32 v50, 0xbf4178ce, v44
	v_add_f32_e32 v47, v30, v3
	v_add_f32_e32 v12, v0, v12
	v_fma_f32 v13, v35, s7, -v50
	v_mul_f32_e32 v54, 0x3ed4b147, v47
	v_add_f32_e32 v48, v11, v5
	v_add_f32_e32 v12, v13, v12
	v_sub_f32_e32 v36, v2, v29
	v_mov_b32_e32 v13, v54
	v_mul_f32_e32 v56, 0xbf27a4f4, v48
	v_fmac_f32_e32 v13, 0xbf68dda4, v36
	v_sub_f32_e32 v38, v4, v10
	v_mov_b32_e32 v14, v56
	v_sub_f32_e32 v46, v7, v9
	v_add_f32_e32 v13, v1, v13
	v_fmac_f32_e32 v14, 0xbf4178ce, v38
	s_mov_b32 s8, 0xbf75a155
	v_add_f32_e32 v37, v8, v6
	v_mul_f32_e32 v53, 0x3e903f40, v46
	v_add_f32_e32 v25, v14, v13
	v_fma_f32 v13, v37, s8, -v53
	v_add_u32_e32 v32, 0xc00, v31
	v_add_f32_e32 v26, v13, v12
	v_add_u32_e32 v33, 0x1400, v31
	ds_read2_b64 v[16:19], v32 offset0:96 offset1:216
	ds_read2_b64 v[12:15], v33 offset0:80 offset1:200
	v_add_f32_e32 v51, v9, v7
	v_mul_f32_e32 v58, 0xbf75a155, v51
	v_sub_f32_e32 v39, v6, v8
	v_mov_b32_e32 v27, v58
	s_waitcnt lgkmcnt(0)
	v_sub_f32_e32 v52, v17, v15
	v_fmac_f32_e32 v27, 0x3e903f40, v39
	s_mov_b32 s9, 0xbe11bafb
	v_add_f32_e32 v40, v14, v16
	v_mul_f32_e32 v59, 0x3f7d64f0, v52
	v_add_f32_e32 v57, v15, v17
	v_add_f32_e32 v25, v27, v25
	v_fma_f32 v27, v40, s9, -v59
	v_mul_f32_e32 v62, 0xbe11bafb, v57
	v_add_f32_e32 v26, v27, v26
	v_sub_f32_e32 v42, v16, v14
	v_mov_b32_e32 v27, v62
	v_sub_f32_e32 v55, v19, v13
	v_fmac_f32_e32 v27, 0x3f7d64f0, v42
	s_mov_b32 s14, 0x3f575c64
	v_add_f32_e32 v43, v12, v18
	v_mul_f32_e32 v61, 0x3f0a6770, v55
	v_add_f32_e32 v60, v13, v19
	v_add_f32_e32 v27, v27, v25
	v_fma_f32 v25, v43, s14, -v61
	v_mul_f32_e32 v63, 0x3f575c64, v60
	v_add_f32_e32 v25, v25, v26
	v_sub_f32_e32 v45, v18, v12
	v_mov_b32_e32 v26, v63
	v_fmac_f32_e32 v26, 0x3f0a6770, v45
	v_mul_f32_e32 v64, 0xbf7d64f0, v41
	v_add_f32_e32 v26, v26, v27
	v_fma_f32 v27, v34, s9, -v64
	v_mul_f32_e32 v65, 0x3e903f40, v44
	v_add_f32_e32 v27, v0, v27
	v_fma_f32 v28, v35, s8, -v65
	v_mul_f32_e32 v69, 0xbe11bafb, v47
	v_add_f32_e32 v27, v28, v27
	v_mov_b32_e32 v28, v69
	v_mul_f32_e32 v70, 0xbf75a155, v48
	v_fmac_f32_e32 v28, 0xbf7d64f0, v36
	v_mov_b32_e32 v66, v70
	v_add_f32_e32 v28, v1, v28
	v_fmac_f32_e32 v66, 0x3e903f40, v38
	v_add_f32_e32 v28, v66, v28
	v_mul_f32_e32 v66, 0x3f68dda4, v46
	v_fma_f32 v67, v37, s6, -v66
	v_mul_f32_e32 v71, 0x3ed4b147, v51
	v_add_f32_e32 v27, v67, v27
	v_mov_b32_e32 v67, v71
	v_fmac_f32_e32 v67, 0x3f68dda4, v39
	v_add_f32_e32 v28, v67, v28
	v_mul_f32_e32 v67, 0xbf0a6770, v52
	v_fma_f32 v68, v40, s14, -v67
	v_mul_f32_e32 v72, 0x3f575c64, v57
	v_add_f32_e32 v27, v68, v27
	v_mov_b32_e32 v68, v72
	v_fmac_f32_e32 v68, 0xbf0a6770, v42
	v_add_f32_e32 v28, v68, v28
	v_mul_f32_e32 v68, 0xbf4178ce, v55
	v_fma_f32 v73, v43, s7, -v68
	v_add_f32_e32 v27, v73, v27
	v_mul_f32_e32 v73, 0xbf27a4f4, v60
	v_mov_b32_e32 v74, v73
	v_fmac_f32_e32 v74, 0xbf4178ce, v45
	s_movk_i32 s4, 0x78
	v_add_f32_e32 v28, v74, v28
	v_cmp_gt_u32_e32 vcc, s4, v24
	s_barrier
	s_and_saveexec_b64 s[4:5], vcc
	s_cbranch_execz .LBB0_15
; %bb.14:
	v_mul_f32_e32 v76, 0xbe903f40, v36
	v_mov_b32_e32 v74, v76
	v_mul_f32_e32 v77, 0x3f0a6770, v38
	v_fmac_f32_e32 v74, 0xbf75a155, v47
	v_mov_b32_e32 v75, v77
	v_add_f32_e32 v74, v1, v74
	v_fmac_f32_e32 v75, 0x3f575c64, v48
	v_mul_f32_e32 v78, 0xbf4178ce, v39
	v_add_f32_e32 v74, v75, v74
	v_mov_b32_e32 v75, v78
	v_fmac_f32_e32 v75, 0xbf27a4f4, v51
	v_mul_f32_e32 v79, 0x3f68dda4, v42
	v_add_f32_e32 v74, v75, v74
	v_mov_b32_e32 v75, v79
	v_fmac_f32_e32 v75, 0x3ed4b147, v57
	v_mul_f32_e32 v80, 0xbe903f40, v41
	v_add_f32_e32 v74, v75, v74
	v_fma_f32 v75, v34, s8, -v80
	v_mul_f32_e32 v81, 0x3f0a6770, v44
	v_add_f32_e32 v75, v0, v75
	v_fma_f32 v82, v35, s14, -v81
	v_fma_f32 v76, v47, s8, -v76
	v_add_f32_e32 v75, v82, v75
	v_mul_f32_e32 v82, 0xbf4178ce, v46
	v_add_f32_e32 v76, v1, v76
	v_fma_f32 v77, v48, s14, -v77
	v_fma_f32 v83, v37, s7, -v82
	v_add_f32_e32 v76, v77, v76
	v_fma_f32 v77, v51, s7, -v78
	v_add_f32_e32 v75, v83, v75
	v_mul_f32_e32 v83, 0x3f68dda4, v52
	v_add_f32_e32 v76, v77, v76
	v_fma_f32 v77, v57, s6, -v79
	v_fmac_f32_e32 v80, 0xbf75a155, v34
	v_fma_f32 v84, v40, s6, -v83
	v_mul_f32_e32 v85, 0xbf7d64f0, v45
	v_add_f32_e32 v76, v77, v76
	v_add_f32_e32 v77, v0, v80
	v_fmac_f32_e32 v81, 0x3f575c64, v35
	v_add_f32_e32 v84, v84, v75
	v_mov_b32_e32 v75, v85
	v_add_f32_e32 v77, v81, v77
	v_fmac_f32_e32 v82, 0xbf27a4f4, v37
	v_fmac_f32_e32 v75, 0xbe11bafb, v60
	v_mul_f32_e32 v86, 0xbf7d64f0, v55
	v_add_f32_e32 v77, v82, v77
	v_fmac_f32_e32 v83, 0x3ed4b147, v40
	v_add_f32_e32 v75, v75, v74
	v_fma_f32 v74, v43, s9, -v86
	v_add_f32_e32 v78, v83, v77
	v_fma_f32 v77, v60, s9, -v85
	v_fmac_f32_e32 v86, 0xbe11bafb, v43
	v_mul_f32_e32 v80, 0xbf27a4f4, v47
	v_add_f32_e32 v77, v77, v76
	v_add_f32_e32 v76, v86, v78
	v_mov_b32_e32 v78, v80
	v_mul_f32_e32 v81, 0xbe11bafb, v48
	v_fmac_f32_e32 v78, 0x3f4178ce, v36
	v_mov_b32_e32 v79, v81
	v_add_f32_e32 v78, v1, v78
	v_fmac_f32_e32 v79, 0xbf7d64f0, v38
	v_mul_f32_e32 v82, 0x3f575c64, v51
	v_add_f32_e32 v78, v79, v78
	v_mov_b32_e32 v79, v82
	v_fmac_f32_e32 v79, 0x3f0a6770, v39
	v_mul_f32_e32 v83, 0xbf75a155, v57
	v_add_f32_e32 v78, v79, v78
	v_mov_b32_e32 v79, v83
	v_add_f32_e32 v74, v74, v84
	v_fmac_f32_e32 v79, 0x3e903f40, v42
	v_mul_f32_e32 v84, 0xbf4178ce, v41
	v_add_f32_e32 v78, v79, v78
	v_mov_b32_e32 v79, v84
	v_mul_f32_e32 v85, 0x3f7d64f0, v44
	v_fmac_f32_e32 v79, 0xbf27a4f4, v34
	v_mov_b32_e32 v86, v85
	v_add_f32_e32 v79, v0, v79
	v_fmac_f32_e32 v86, 0xbe11bafb, v35
	v_add_f32_e32 v79, v86, v79
	v_mul_f32_e32 v86, 0xbf0a6770, v46
	v_mov_b32_e32 v87, v86
	v_fmac_f32_e32 v87, 0x3f575c64, v37
	v_add_f32_e32 v79, v87, v79
	v_mul_f32_e32 v87, 0xbe903f40, v52
	v_mov_b32_e32 v88, v87
	v_fmac_f32_e32 v88, 0xbf75a155, v40
	v_mul_f32_e32 v89, 0x3ed4b147, v60
	v_add_f32_e32 v88, v88, v79
	v_mov_b32_e32 v79, v89
	v_fmac_f32_e32 v79, 0xbf68dda4, v45
	v_mul_f32_e32 v90, 0x3f68dda4, v55
	v_add_f32_e32 v79, v79, v78
	v_mov_b32_e32 v78, v90
	v_fmac_f32_e32 v78, 0x3ed4b147, v43
	v_add_f32_e32 v78, v78, v88
	v_mul_f32_e32 v88, 0xbf7d64f0, v36
	v_sub_f32_e32 v69, v69, v88
	v_mul_f32_e32 v88, 0x3e903f40, v38
	v_sub_f32_e32 v70, v70, v88
	v_add_f32_e32 v69, v1, v69
	v_add_f32_e32 v69, v70, v69
	v_mul_f32_e32 v70, 0x3f68dda4, v39
	v_sub_f32_e32 v70, v71, v70
	v_mul_f32_e32 v71, 0xbe11bafb, v34
	v_add_f32_e32 v64, v71, v64
	v_mul_f32_e32 v71, 0xbf75a155, v35
	v_add_f32_e32 v65, v71, v65
	v_add_f32_e32 v64, v0, v64
	v_add_f32_e32 v64, v65, v64
	v_mul_f32_e32 v65, 0x3ed4b147, v37
	v_add_f32_e32 v65, v65, v66
	v_add_f32_e32 v64, v65, v64
	v_mul_f32_e32 v65, 0x3f575c64, v40
	v_add_f32_e32 v65, v65, v67
	v_add_f32_e32 v64, v65, v64
	;; [unrolled: 3-line block ×3, first 2 shown]
	v_mul_f32_e32 v66, 0xbf68dda4, v36
	v_sub_f32_e32 v54, v54, v66
	v_mul_f32_e32 v66, 0xbf4178ce, v38
	v_sub_f32_e32 v56, v56, v66
	v_add_f32_e32 v54, v1, v54
	v_add_f32_e32 v54, v56, v54
	v_mul_f32_e32 v56, 0x3e903f40, v39
	v_sub_f32_e32 v56, v58, v56
	v_mul_f32_e32 v58, 0x3ed4b147, v34
	v_add_f32_e32 v49, v58, v49
	v_mul_f32_e32 v58, 0xbf27a4f4, v35
	v_add_f32_e32 v50, v58, v50
	v_add_f32_e32 v49, v0, v49
	;; [unrolled: 1-line block ×3, first 2 shown]
	v_mul_f32_e32 v50, 0xbf75a155, v37
	v_add_f32_e32 v50, v50, v53
	v_add_f32_e32 v49, v50, v49
	v_mul_f32_e32 v50, 0xbe11bafb, v40
	v_add_f32_e32 v54, v56, v54
	v_mul_f32_e32 v56, 0x3f7d64f0, v42
	;; [unrolled: 2-line block ×3, first 2 shown]
	v_sub_f32_e32 v56, v62, v56
	v_add_f32_e32 v49, v53, v49
	v_add_f32_e32 v53, v58, v61
	;; [unrolled: 1-line block ×3, first 2 shown]
	v_mul_f32_e32 v56, 0x3f0a6770, v45
	v_add_f32_e32 v49, v53, v49
	v_mul_f32_e32 v53, 0x3f575c64, v47
	v_sub_f32_e32 v56, v63, v56
	v_mov_b32_e32 v47, v53
	v_mul_f32_e32 v48, 0x3ed4b147, v48
	v_add_f32_e32 v50, v56, v54
	v_fmac_f32_e32 v47, 0x3f0a6770, v36
	v_mov_b32_e32 v54, v48
	v_add_f32_e32 v47, v1, v47
	v_fmac_f32_e32 v54, 0x3f68dda4, v38
	v_mul_f32_e32 v51, 0xbe11bafb, v51
	v_add_f32_e32 v47, v54, v47
	v_mov_b32_e32 v54, v51
	v_fmac_f32_e32 v54, 0x3f7d64f0, v39
	v_add_f32_e32 v47, v54, v47
	v_mul_f32_e32 v54, 0xbf27a4f4, v57
	v_mov_b32_e32 v56, v54
	v_add_f32_e32 v2, v0, v2
	v_fmac_f32_e32 v80, 0xbf4178ce, v36
	v_fmac_f32_e32 v56, 0x3f4178ce, v42
	v_add_f32_e32 v2, v2, v4
	v_add_f32_e32 v4, v1, v80
	v_fmac_f32_e32 v81, 0x3f7d64f0, v38
	v_add_f32_e32 v47, v56, v47
	v_mul_f32_e32 v56, 0xbf75a155, v60
	v_add_f32_e32 v4, v81, v4
	v_fmac_f32_e32 v82, 0xbf0a6770, v39
	v_mov_b32_e32 v57, v56
	v_add_f32_e32 v4, v82, v4
	v_fmac_f32_e32 v83, 0xbe903f40, v42
	v_fmac_f32_e32 v57, 0x3e903f40, v45
	v_mul_f32_e32 v41, 0xbf0a6770, v41
	v_add_f32_e32 v3, v1, v3
	v_add_f32_e32 v4, v83, v4
	v_fmac_f32_e32 v89, 0x3f68dda4, v45
	v_add_f32_e32 v47, v57, v47
	v_mov_b32_e32 v57, v41
	v_mul_f32_e32 v44, 0xbf68dda4, v44
	v_add_f32_e32 v3, v3, v5
	v_add_f32_e32 v5, v89, v4
	v_fma_f32 v4, v34, s7, -v84
	v_fmac_f32_e32 v57, 0x3f575c64, v34
	v_mov_b32_e32 v58, v44
	v_add_f32_e32 v2, v2, v6
	v_add_f32_e32 v4, v0, v4
	v_fma_f32 v6, v35, s9, -v85
	v_add_f32_e32 v57, v0, v57
	v_fmac_f32_e32 v58, 0x3ed4b147, v35
	v_add_f32_e32 v4, v6, v4
	v_fma_f32 v6, v37, s14, -v86
	v_add_f32_e32 v57, v58, v57
	v_mul_f32_e32 v58, 0xbf7d64f0, v46
	v_add_f32_e32 v3, v3, v7
	v_add_f32_e32 v4, v6, v4
	v_fma_f32 v6, v40, s8, -v87
	v_mov_b32_e32 v46, v58
	v_add_f32_e32 v3, v3, v17
	v_add_f32_e32 v2, v2, v16
	;; [unrolled: 1-line block ×3, first 2 shown]
	v_fma_f32 v6, v43, s6, -v90
	v_fmac_f32_e32 v46, 0xbe11bafb, v37
	v_mul_f32_e32 v52, 0xbf4178ce, v52
	v_add_f32_e32 v3, v3, v19
	v_add_f32_e32 v2, v2, v18
	v_add_f32_e32 v4, v6, v4
	v_fma_f32 v6, v34, s14, -v41
	v_add_f32_e32 v46, v46, v57
	v_mov_b32_e32 v57, v52
	v_add_f32_e32 v3, v3, v13
	v_add_f32_e32 v2, v2, v12
	v_fmac_f32_e32 v53, 0xbf0a6770, v36
	v_add_f32_e32 v0, v0, v6
	v_fma_f32 v6, v35, s6, -v44
	v_add_f32_e32 v69, v70, v69
	v_mul_f32_e32 v70, 0xbf0a6770, v42
	v_fmac_f32_e32 v57, 0xbf27a4f4, v40
	v_mul_f32_e32 v55, 0xbe903f40, v55
	v_add_f32_e32 v3, v3, v15
	v_add_f32_e32 v2, v2, v14
	;; [unrolled: 1-line block ×3, first 2 shown]
	v_fmac_f32_e32 v48, 0xbf68dda4, v38
	v_add_f32_e32 v0, v6, v0
	v_fma_f32 v6, v37, s9, -v58
	v_sub_f32_e32 v70, v72, v70
	v_add_f32_e32 v46, v57, v46
	v_mov_b32_e32 v57, v55
	v_add_f32_e32 v3, v3, v9
	v_add_f32_e32 v2, v2, v8
	;; [unrolled: 1-line block ×3, first 2 shown]
	v_fmac_f32_e32 v51, 0xbf7d64f0, v39
	v_add_f32_e32 v0, v6, v0
	v_fma_f32 v6, v40, s7, -v52
	v_add_f32_e32 v69, v70, v69
	v_mul_f32_e32 v70, 0xbf4178ce, v45
	v_fmac_f32_e32 v57, 0xbf75a155, v43
	v_add_f32_e32 v3, v3, v11
	v_add_f32_e32 v2, v2, v10
	;; [unrolled: 1-line block ×3, first 2 shown]
	v_fmac_f32_e32 v54, 0xbf4178ce, v42
	v_add_f32_e32 v0, v6, v0
	v_fma_f32 v6, v43, s8, -v55
	s_movk_i32 s6, 0x50
	v_sub_f32_e32 v70, v73, v70
	v_add_f32_e32 v46, v57, v46
	v_add_f32_e32 v3, v3, v30
	;; [unrolled: 1-line block ×4, first 2 shown]
	v_fmac_f32_e32 v56, 0xbe903f40, v45
	v_add_f32_e32 v0, v6, v0
	v_mad_u32_u24 v6, v24, s6, v31
	v_add_f32_e32 v65, v70, v69
	v_add_f32_e32 v1, v56, v1
	ds_write2_b64 v6, v[2:3], v[46:47] offset1:1
	ds_write2_b64 v6, v[49:50], v[64:65] offset0:2 offset1:3
	ds_write2_b64 v6, v[78:79], v[76:77] offset0:4 offset1:5
	;; [unrolled: 1-line block ×4, first 2 shown]
	ds_write_b64 v6, v[0:1] offset:80
.LBB0_15:
	s_or_b64 exec, exec, s[4:5]
	s_movk_i32 s4, 0x75
	v_mul_lo_u16_sdwa v1, v24, s4 dst_sel:DWORD dst_unused:UNUSED_PAD src0_sel:BYTE_0 src1_sel:DWORD
	v_sub_u16_sdwa v2, v24, v1 dst_sel:DWORD dst_unused:UNUSED_PAD src0_sel:DWORD src1_sel:BYTE_1
	v_lshrrev_b16_e32 v2, 1, v2
	v_and_b32_e32 v2, 0x7f, v2
	v_add_u16_sdwa v1, v2, v1 dst_sel:DWORD dst_unused:UNUSED_PAD src0_sel:DWORD src1_sel:BYTE_1
	v_add_u32_e32 v18, 0xa5, v24
	v_lshrrev_b16_e32 v30, 3, v1
	s_mov_b32 s4, 0xba2f
	v_mul_lo_u16_e32 v1, 11, v30
	v_mul_u32_u24_sdwa v19, v18, s4 dst_sel:DWORD dst_unused:UNUSED_PAD src0_sel:WORD_0 src1_sel:DWORD
	v_add_u32_e32 v17, 0x14a, v24
	v_sub_u16_e32 v1, v24, v1
	v_mov_b32_e32 v16, 3
	v_lshrrev_b32_e32 v43, 19, v19
	v_lshlrev_b32_sdwa v42, v16, v1 dst_sel:DWORD dst_unused:UNUSED_PAD src0_sel:DWORD src1_sel:BYTE_0
	v_mul_lo_u16_e32 v1, 11, v43
	v_mul_u32_u24_sdwa v29, v17, s4 dst_sel:DWORD dst_unused:UNUSED_PAD src0_sel:WORD_0 src1_sel:DWORD
	v_sub_u16_e32 v1, v18, v1
	v_lshrrev_b32_e32 v45, 19, v29
	v_lshlrev_b32_e32 v44, 3, v1
	v_mul_lo_u16_e32 v1, 11, v45
	v_add_u32_e32 v0, 0x1ef, v24
	v_sub_u16_e32 v1, v17, v1
	v_lshlrev_b32_e32 v46, 3, v1
	v_mul_u32_u24_sdwa v1, v0, s4 dst_sel:DWORD dst_unused:UNUSED_PAD src0_sel:WORD_0 src1_sel:DWORD
	v_lshrrev_b32_e32 v47, 19, v1
	v_mul_lo_u16_e32 v1, 11, v47
	v_sub_u16_e32 v0, v0, v1
	s_load_dwordx2 s[2:3], s[2:3], 0x0
	s_waitcnt lgkmcnt(0)
	s_barrier
	global_load_dwordx2 v[34:35], v42, s[12:13]
	global_load_dwordx2 v[36:37], v44, s[12:13]
	;; [unrolled: 1-line block ×3, first 2 shown]
	v_lshlrev_b32_e32 v48, 3, v0
	global_load_dwordx2 v[40:41], v48, s[12:13]
	v_add_u32_e32 v8, 0x800, v31
	v_add_u32_e32 v12, 0x1e00, v31
	ds_read2_b64 v[0:3], v31 offset1:165
	ds_read2_b64 v[4:7], v33 offset0:20 offset1:185
	ds_read2_b64 v[8:11], v8 offset0:74 offset1:239
	;; [unrolled: 1-line block ×3, first 2 shown]
	v_mul_u32_u24_e32 v33, 0xb0, v43
	v_mul_u32_u24_e32 v43, 0xb0, v45
	v_add3_u32 v44, 0, v33, v44
	v_add3_u32 v43, 0, v43, v46
	v_mul_u32_u24_e32 v30, 0xb0, v30
	v_mul_u32_u24_e32 v45, 0xb0, v47
	v_add3_u32 v30, 0, v30, v42
	v_add3_u32 v45, 0, v45, v48
	s_waitcnt vmcnt(0) lgkmcnt(0)
	s_barrier
	s_movk_i32 s4, 0x6e
	v_cmp_gt_u32_e32 vcc, s4, v24
	v_mul_f32_e32 v33, v35, v5
	v_mul_f32_e32 v35, v35, v4
	;; [unrolled: 1-line block ×8, first 2 shown]
	v_fmac_f32_e32 v33, v34, v4
	v_fma_f32 v5, v34, v5, -v35
	v_fmac_f32_e32 v46, v38, v12
	v_fmac_f32_e32 v42, v36, v6
	v_fma_f32 v7, v36, v7, -v37
	v_fma_f32 v12, v38, v13, -v39
	v_fmac_f32_e32 v47, v40, v14
	v_fma_f32 v13, v40, v15, -v41
	v_sub_f32_e32 v4, v0, v33
	v_sub_f32_e32 v5, v1, v5
	v_sub_f32_e32 v33, v8, v46
	v_sub_f32_e32 v6, v2, v42
	v_sub_f32_e32 v7, v3, v7
	v_sub_f32_e32 v34, v9, v12
	v_sub_f32_e32 v14, v10, v47
	v_sub_f32_e32 v15, v11, v13
	v_fma_f32 v0, v0, 2.0, -v4
	v_fma_f32 v1, v1, 2.0, -v5
	;; [unrolled: 1-line block ×8, first 2 shown]
	ds_write2_b64 v30, v[0:1], v[4:5] offset1:11
	ds_write2_b64 v44, v[2:3], v[6:7] offset1:11
	;; [unrolled: 1-line block ×4, first 2 shown]
	v_add_u32_e32 v8, 0x1a00, v31
	s_waitcnt lgkmcnt(0)
	s_barrier
	ds_read2_b64 v[0:3], v31 offset1:165
	ds_read2_b64 v[4:7], v32 offset0:56 offset1:221
	ds_read2_b64 v[8:11], v8 offset0:48 offset1:213
	s_and_saveexec_b64 s[4:5], vcc
	s_cbranch_execz .LBB0_17
; %bb.16:
	ds_read_b64 v[12:13], v31 offset:2640
	ds_read_b64 v[14:15], v31 offset:6160
	;; [unrolled: 1-line block ×3, first 2 shown]
.LBB0_17:
	s_or_b64 exec, exec, s[4:5]
	v_lshrrev_b32_e32 v29, 20, v29
	v_lshrrev_b32_e32 v19, 20, v19
	v_mul_lo_u16_e32 v30, 22, v29
	v_mul_lo_u16_e32 v40, 22, v19
	v_sub_u16_e32 v17, v17, v30
	v_sub_u16_e32 v45, v18, v40
	v_lshlrev_b32_e32 v30, 4, v17
	v_lshlrev_b32_e32 v40, 4, v45
	global_load_dwordx4 v[32:35], v30, s[12:13] offset:88
	v_mov_b32_e32 v36, 4
	global_load_dwordx4 v[40:43], v40, s[12:13] offset:88
	v_lshrrev_b16_e32 v30, 1, v24
	v_and_b32_e32 v30, 0x7f, v30
	v_mul_lo_u16_e32 v30, 0xbb, v30
	v_lshrrev_b16_e32 v30, 11, v30
	v_mul_lo_u16_e32 v37, 22, v30
	v_sub_u16_e32 v44, v24, v37
	v_lshlrev_b32_sdwa v36, v36, v44 dst_sel:DWORD dst_unused:UNUSED_PAD src0_sel:DWORD src1_sel:BYTE_0
	global_load_dwordx4 v[36:39], v36, s[12:13] offset:88
	v_mul_u32_u24_e32 v30, 0x210, v30
	v_lshlrev_b32_sdwa v16, v16, v44 dst_sel:DWORD dst_unused:UNUSED_PAD src0_sel:DWORD src1_sel:BYTE_0
	v_add3_u32 v16, 0, v30, v16
	s_waitcnt vmcnt(0) lgkmcnt(0)
	s_barrier
	v_mul_f32_e32 v46, v15, v33
	v_mul_f32_e32 v47, v28, v35
	;; [unrolled: 1-line block ×4, first 2 shown]
	v_fmac_f32_e32 v46, v14, v32
	v_fmac_f32_e32 v47, v27, v34
	v_fma_f32 v14, v15, v32, -v33
	v_fma_f32 v15, v28, v34, -v35
	v_add_f32_e32 v27, v12, v46
	v_add_f32_e32 v28, v46, v47
	v_sub_f32_e32 v35, v46, v47
	v_mul_f32_e32 v46, v37, v5
	v_mul_f32_e32 v37, v37, v4
	v_mul_f32_e32 v48, v39, v9
	v_mul_f32_e32 v39, v39, v8
	v_sub_f32_e32 v32, v14, v15
	v_add_f32_e32 v33, v13, v14
	v_add_f32_e32 v34, v14, v15
	v_mul_f32_e32 v50, v43, v11
	v_mul_f32_e32 v43, v43, v10
	v_add_f32_e32 v14, v27, v47
	v_fmac_f32_e32 v46, v36, v4
	v_fma_f32 v27, v36, v5, -v37
	v_fmac_f32_e32 v48, v38, v8
	v_fma_f32 v8, v38, v9, -v39
	v_mul_f32_e32 v49, v41, v7
	v_mul_f32_e32 v41, v41, v6
	v_add_f32_e32 v15, v33, v15
	v_fmac_f32_e32 v50, v42, v10
	v_fma_f32 v9, v42, v11, -v43
	v_add_f32_e32 v10, v46, v48
	v_sub_f32_e32 v33, v27, v8
	v_add_f32_e32 v11, v27, v1
	v_add_f32_e32 v27, v27, v8
	v_fmac_f32_e32 v49, v40, v6
	v_fma_f32 v6, v40, v7, -v41
	v_add_f32_e32 v7, v46, v0
	v_fma_f32 v0, -0.5, v10, v0
	v_fma_f32 v1, -0.5, v27, v1
	v_fmac_f32_e32 v13, -0.5, v34
	v_sub_f32_e32 v34, v46, v48
	v_add_f32_e32 v36, v49, v50
	v_sub_f32_e32 v37, v6, v9
	v_add_f32_e32 v38, v3, v6
	v_add_f32_e32 v39, v6, v9
	;; [unrolled: 1-line block ×4, first 2 shown]
	v_mov_b32_e32 v10, v0
	v_mov_b32_e32 v11, v1
	v_fmac_f32_e32 v12, -0.5, v28
	v_add_f32_e32 v28, v2, v49
	v_fma_f32 v2, -0.5, v36, v2
	v_fmac_f32_e32 v3, -0.5, v39
	v_fmac_f32_e32 v0, 0x3f5db3d7, v33
	v_fmac_f32_e32 v1, 0xbf5db3d7, v34
	;; [unrolled: 1-line block ×4, first 2 shown]
	v_mov_b32_e32 v4, v12
	v_mov_b32_e32 v5, v13
	v_sub_f32_e32 v40, v49, v50
	v_add_f32_e32 v8, v28, v50
	v_mov_b32_e32 v27, v2
	v_mov_b32_e32 v28, v3
	ds_write2_b64 v16, v[6:7], v[10:11] offset1:22
	ds_write_b64 v16, v[0:1] offset:352
	v_mul_u32_u24_e32 v0, 0x210, v19
	v_lshlrev_b32_e32 v1, 3, v45
	v_fmac_f32_e32 v12, 0x3f5db3d7, v32
	v_fmac_f32_e32 v13, 0xbf5db3d7, v35
	;; [unrolled: 1-line block ×4, first 2 shown]
	v_add_f32_e32 v9, v38, v9
	v_fmac_f32_e32 v2, 0x3f5db3d7, v37
	v_fmac_f32_e32 v3, 0xbf5db3d7, v40
	;; [unrolled: 1-line block ×4, first 2 shown]
	v_add3_u32 v0, 0, v0, v1
	ds_write2_b64 v0, v[8:9], v[27:28] offset1:22
	ds_write_b64 v0, v[2:3] offset:352
	s_and_saveexec_b64 s[4:5], vcc
	s_cbranch_execz .LBB0_19
; %bb.18:
	v_mul_lo_u16_e32 v0, 0x42, v29
	v_lshlrev_b32_e32 v1, 3, v17
	v_lshlrev_b32_e32 v0, 3, v0
	v_add3_u32 v0, 0, v1, v0
	ds_write2_b64 v0, v[14:15], v[4:5] offset1:22
	ds_write_b64 v0, v[12:13] offset:352
.LBB0_19:
	s_or_b64 exec, exec, s[4:5]
	s_waitcnt lgkmcnt(0)
	s_barrier
	ds_read_b64 v[0:1], v31
	ds_read_b64 v[16:17], v31 offset:2112
	ds_read_b64 v[10:11], v31 offset:4224
	;; [unrolled: 1-line block ×4, first 2 shown]
	s_movk_i32 s4, 0x63
	v_cmp_gt_u32_e32 vcc, s4, v24
	s_and_saveexec_b64 s[4:5], vcc
	s_cbranch_execz .LBB0_21
; %bb.20:
	ds_read_b64 v[2:3], v31 offset:1320
	ds_read_b64 v[14:15], v31 offset:3432
	;; [unrolled: 1-line block ×5, first 2 shown]
.LBB0_21:
	s_or_b64 exec, exec, s[4:5]
	s_movk_i32 s4, 0xf9
	v_mul_lo_u16_sdwa v19, v24, s4 dst_sel:DWORD dst_unused:UNUSED_PAD src0_sel:BYTE_0 src1_sel:DWORD
	v_lshrrev_b16_e32 v19, 14, v19
	v_mul_lo_u16_e32 v27, 0x42, v19
	v_sub_u16_e32 v36, v24, v27
	v_mov_b32_e32 v27, 5
	v_lshlrev_b32_sdwa v37, v27, v36 dst_sel:DWORD dst_unused:UNUSED_PAD src0_sel:DWORD src1_sel:BYTE_0
	global_load_dwordx4 v[27:30], v37, s[12:13] offset:440
	global_load_dwordx4 v[32:35], v37, s[12:13] offset:456
	v_mov_b32_e32 v37, 3
	v_mul_u32_u24_e32 v19, 0xa50, v19
	v_lshlrev_b32_sdwa v36, v37, v36 dst_sel:DWORD dst_unused:UNUSED_PAD src0_sel:DWORD src1_sel:BYTE_0
	v_add3_u32 v19, 0, v19, v36
	s_waitcnt vmcnt(0) lgkmcnt(0)
	s_barrier
	v_mul_f32_e32 v36, v28, v17
	v_mul_f32_e32 v28, v28, v16
	;; [unrolled: 1-line block ×8, first 2 shown]
	v_fmac_f32_e32 v36, v27, v16
	v_fma_f32 v16, v27, v17, -v28
	v_fmac_f32_e32 v37, v29, v10
	v_fma_f32 v10, v29, v11, -v30
	;; [unrolled: 2-line block ×4, first 2 shown]
	v_add_f32_e32 v6, v0, v36
	v_add_f32_e32 v7, v37, v38
	v_sub_f32_e32 v8, v36, v37
	v_sub_f32_e32 v11, v39, v38
	v_add_f32_e32 v33, v1, v16
	v_add_f32_e32 v34, v10, v9
	;; [unrolled: 1-line block ×3, first 2 shown]
	v_sub_f32_e32 v30, v37, v36
	v_sub_f32_e32 v35, v36, v39
	;; [unrolled: 1-line block ×3, first 2 shown]
	v_add_f32_e32 v42, v16, v17
	v_add_f32_e32 v37, v6, v37
	v_fma_f32 v6, -0.5, v7, v0
	v_add_f32_e32 v44, v8, v11
	v_add_f32_e32 v11, v33, v10
	v_fma_f32 v7, -0.5, v34, v1
	v_sub_f32_e32 v27, v16, v17
	v_sub_f32_e32 v28, v10, v9
	;; [unrolled: 1-line block ×4, first 2 shown]
	v_fma_f32 v0, -0.5, v29, v0
	v_fmac_f32_e32 v1, -0.5, v42
	v_mov_b32_e32 v8, v6
	v_add_f32_e32 v33, v11, v9
	v_mov_b32_e32 v9, v7
	v_sub_f32_e32 v32, v38, v39
	v_sub_f32_e32 v40, v16, v10
	;; [unrolled: 1-line block ×3, first 2 shown]
	v_mov_b32_e32 v10, v0
	v_mov_b32_e32 v11, v1
	v_fmac_f32_e32 v8, 0xbf737871, v27
	v_fmac_f32_e32 v9, 0x3f737871, v35
	v_add_f32_e32 v29, v30, v32
	v_add_f32_e32 v30, v40, v41
	;; [unrolled: 1-line block ×4, first 2 shown]
	v_fmac_f32_e32 v6, 0x3f737871, v27
	v_fmac_f32_e32 v0, 0xbf737871, v28
	;; [unrolled: 1-line block ×8, first 2 shown]
	v_add_f32_e32 v16, v16, v39
	v_fmac_f32_e32 v6, 0x3f167918, v28
	v_fmac_f32_e32 v0, 0x3f167918, v27
	v_add_f32_e32 v17, v33, v17
	v_fmac_f32_e32 v7, 0xbf167918, v36
	v_fmac_f32_e32 v1, 0xbf167918, v35
	;; [unrolled: 1-line block ×12, first 2 shown]
	ds_write2_b64 v19, v[16:17], v[8:9] offset1:66
	ds_write2_b64 v19, v[10:11], v[0:1] offset0:132 offset1:198
	ds_write_b64 v19, v[6:7] offset:2112
	s_and_saveexec_b64 s[4:5], vcc
	s_cbranch_execz .LBB0_23
; %bb.22:
	s_mov_b32 s6, 0xf83f
	v_mul_u32_u24_sdwa v0, v18, s6 dst_sel:DWORD dst_unused:UNUSED_PAD src0_sel:WORD_0 src1_sel:DWORD
	v_lshrrev_b32_e32 v0, 22, v0
	v_mul_lo_u16_e32 v1, 0x42, v0
	v_sub_u16_e32 v1, v18, v1
	v_lshlrev_b32_e32 v10, 5, v1
	global_load_dwordx4 v[6:9], v10, s[12:13] offset:440
	global_load_dwordx4 v[16:19], v10, s[12:13] offset:456
	v_mul_lo_u16_e32 v0, 0x14a, v0
	v_lshlrev_b32_e32 v0, 3, v0
	v_lshlrev_b32_e32 v1, 3, v1
	v_add3_u32 v10, 0, v1, v0
	s_waitcnt vmcnt(1)
	v_mul_f32_e32 v0, v14, v7
	v_mul_f32_e32 v1, v4, v9
	s_waitcnt vmcnt(0)
	v_mul_f32_e32 v11, v25, v19
	v_mul_f32_e32 v27, v12, v17
	;; [unrolled: 1-line block ×6, first 2 shown]
	v_fma_f32 v0, v15, v6, -v0
	v_fma_f32 v5, v5, v8, -v1
	;; [unrolled: 1-line block ×4, first 2 shown]
	v_fmac_f32_e32 v9, v4, v8
	v_fmac_f32_e32 v17, v12, v16
	;; [unrolled: 1-line block ×4, first 2 shown]
	v_sub_f32_e32 v1, v0, v5
	v_sub_f32_e32 v4, v11, v13
	v_add_f32_e32 v6, v5, v13
	v_add_f32_e32 v16, v9, v17
	v_sub_f32_e32 v14, v7, v19
	v_sub_f32_e32 v8, v7, v9
	;; [unrolled: 1-line block ×3, first 2 shown]
	v_add_f32_e32 v26, v3, v0
	v_add_f32_e32 v27, v2, v7
	v_sub_f32_e32 v28, v5, v0
	v_add_f32_e32 v30, v0, v11
	v_sub_f32_e32 v32, v9, v7
	v_add_f32_e32 v7, v7, v19
	v_add_f32_e32 v34, v1, v4
	v_fma_f32 v1, -0.5, v6, v3
	v_fma_f32 v0, -0.5, v16, v2
	v_sub_f32_e32 v15, v19, v17
	v_sub_f32_e32 v25, v5, v13
	v_add_f32_e32 v6, v26, v5
	v_fmac_f32_e32 v3, -0.5, v30
	v_fmac_f32_e32 v2, -0.5, v7
	v_mov_b32_e32 v5, v1
	v_mov_b32_e32 v4, v0
	v_sub_f32_e32 v12, v9, v17
	v_add_f32_e32 v15, v8, v15
	v_add_f32_e32 v8, v27, v9
	;; [unrolled: 1-line block ×3, first 2 shown]
	v_mov_b32_e32 v7, v3
	v_mov_b32_e32 v6, v2
	v_fmac_f32_e32 v5, 0x3f737871, v14
	v_fmac_f32_e32 v4, 0xbf737871, v18
	v_sub_f32_e32 v29, v13, v11
	v_sub_f32_e32 v33, v17, v19
	v_add_f32_e32 v8, v8, v17
	v_fmac_f32_e32 v3, 0xbf737871, v12
	v_fmac_f32_e32 v1, 0xbf737871, v14
	;; [unrolled: 1-line block ×8, first 2 shown]
	v_add_f32_e32 v16, v28, v29
	v_add_f32_e32 v26, v32, v33
	;; [unrolled: 1-line block ×4, first 2 shown]
	v_fmac_f32_e32 v3, 0x3f167918, v14
	v_fmac_f32_e32 v1, 0xbf167918, v12
	v_fmac_f32_e32 v2, 0xbf167918, v18
	v_fmac_f32_e32 v0, 0x3f167918, v25
	v_fmac_f32_e32 v7, 0xbf167918, v14
	v_fmac_f32_e32 v6, 0x3f167918, v18
	v_fmac_f32_e32 v5, 0x3e9e377a, v34
	v_fmac_f32_e32 v4, 0x3e9e377a, v15
	v_fmac_f32_e32 v3, 0x3e9e377a, v16
	v_fmac_f32_e32 v1, 0x3e9e377a, v34
	v_fmac_f32_e32 v2, 0x3e9e377a, v26
	v_fmac_f32_e32 v0, 0x3e9e377a, v15
	v_fmac_f32_e32 v7, 0x3e9e377a, v16
	v_fmac_f32_e32 v6, 0x3e9e377a, v26
	ds_write2_b64 v10, v[8:9], v[4:5] offset1:66
	ds_write2_b64 v10, v[2:3], v[6:7] offset0:132 offset1:198
	ds_write_b64 v10, v[0:1] offset:2112
.LBB0_23:
	s_or_b64 exec, exec, s[4:5]
	v_mul_u32_u24_e32 v0, 3, v24
	v_lshlrev_b32_e32 v4, 3, v0
	v_mov_b32_e32 v5, s13
	v_add_co_u32_e32 v8, vcc, s12, v4
	v_addc_co_u32_e32 v9, vcc, 0, v5, vcc
	s_movk_i32 s5, 0x1000
	s_waitcnt lgkmcnt(0)
	s_barrier
	global_load_dwordx2 v[26:27], v4, s[12:13] offset:2568
	global_load_dwordx4 v[0:3], v4, s[12:13] offset:2552
	v_add_co_u32_e32 v4, vcc, s5, v8
	s_movk_i32 s4, 0x1970
	v_addc_co_u32_e32 v5, vcc, 0, v9, vcc
	v_add_co_u32_e32 v8, vcc, s4, v8
	v_addc_co_u32_e32 v9, vcc, 0, v9, vcc
	global_load_dwordx4 v[4:7], v[4:5], off offset:2416
	v_add_u32_e32 v30, 0x800, v31
	global_load_dwordx2 v[28:29], v[8:9], off offset:16
	v_add_u32_e32 v36, 0x1400, v31
	ds_read_b64 v[32:33], v31 offset:7920
	v_add_u32_e32 v34, 0x2400, v31
	ds_read2_b64 v[12:15], v30 offset0:74 offset1:239
	ds_read2_b64 v[8:11], v31 offset1:165
	ds_read2_b64 v[16:19], v36 offset0:20 offset1:185
	ds_read2_b32 v[34:35], v34 offset0:6 offset1:7
	s_waitcnt vmcnt(0) lgkmcnt(0)
	s_barrier
	s_add_u32 s6, s12, 0x28e8
	v_mov_b32_e32 v25, 0
	s_addc_u32 s7, s13, 0
	v_cmp_ne_u32_e32 vcc, 0, v24
	v_mul_f32_e32 v39, v27, v33
	v_mul_f32_e32 v37, v1, v13
	;; [unrolled: 1-line block ×6, first 2 shown]
	v_fmac_f32_e32 v37, v0, v12
	v_fma_f32 v0, v0, v13, -v1
	v_fmac_f32_e32 v38, v2, v16
	v_fma_f32 v1, v2, v17, -v3
	;; [unrolled: 2-line block ×3, first 2 shown]
	v_mul_f32_e32 v12, v5, v15
	v_mul_f32_e32 v3, v5, v14
	v_mul_f32_e32 v13, v7, v19
	v_mul_f32_e32 v5, v7, v18
	v_mul_f32_e32 v7, v35, v29
	v_mul_f32_e32 v16, v29, v34
	v_sub_f32_e32 v17, v8, v38
	v_sub_f32_e32 v26, v9, v1
	;; [unrolled: 1-line block ×4, first 2 shown]
	v_fmac_f32_e32 v12, v4, v14
	v_fma_f32 v14, v4, v15, -v3
	v_fmac_f32_e32 v13, v6, v18
	v_fma_f32 v6, v6, v19, -v5
	;; [unrolled: 2-line block ×3, first 2 shown]
	v_fma_f32 v8, v8, 2.0, -v17
	v_fma_f32 v9, v9, 2.0, -v26
	;; [unrolled: 1-line block ×4, first 2 shown]
	v_add_f32_e32 v0, v17, v2
	v_sub_f32_e32 v2, v8, v3
	v_sub_f32_e32 v3, v9, v4
	v_fma_f32 v4, v17, 2.0, -v0
	v_sub_f32_e32 v13, v10, v13
	v_sub_f32_e32 v16, v11, v6
	;; [unrolled: 1-line block ×4, first 2 shown]
	v_fma_f32 v18, v10, 2.0, -v13
	v_fma_f32 v19, v11, 2.0, -v16
	;; [unrolled: 1-line block ×4, first 2 shown]
	v_sub_f32_e32 v10, v18, v10
	v_sub_f32_e32 v11, v19, v11
	;; [unrolled: 1-line block ×3, first 2 shown]
	v_fma_f32 v6, v8, 2.0, -v2
	v_fma_f32 v7, v9, 2.0, -v3
	v_add_f32_e32 v8, v13, v15
	v_sub_f32_e32 v9, v16, v17
	v_fma_f32 v14, v18, 2.0, -v10
	v_fma_f32 v15, v19, 2.0, -v11
	;; [unrolled: 1-line block ×5, first 2 shown]
	ds_write2_b64 v31, v[6:7], v[14:15] offset1:165
	ds_write2_b64 v30, v[4:5], v[12:13] offset0:74 offset1:239
	ds_write2_b64 v36, v[2:3], v[10:11] offset0:20 offset1:185
	v_add_u32_e32 v2, 0x1e00, v31
	ds_write2_b64 v2, v[0:1], v[8:9] offset0:30 offset1:195
	s_waitcnt lgkmcnt(0)
	s_barrier
	ds_read_b64 v[2:3], v31
	v_lshlrev_b32_e32 v0, 3, v24
	v_sub_u32_e32 v6, 0, v0
                                        ; implicit-def: $vgpr0
                                        ; implicit-def: $vgpr7
                                        ; implicit-def: $vgpr8
                                        ; implicit-def: $vgpr4_vgpr5
	s_and_saveexec_b64 s[4:5], vcc
	s_xor_b64 s[4:5], exec, s[4:5]
	s_cbranch_execz .LBB0_25
; %bb.24:
	v_lshlrev_b64 v[0:1], 3, v[24:25]
	v_mov_b32_e32 v4, s7
	v_add_co_u32_e32 v0, vcc, s6, v0
	v_addc_co_u32_e32 v1, vcc, v4, v1, vcc
	global_load_dwordx2 v[0:1], v[0:1], off
	ds_read_b64 v[4:5], v6 offset:10560
	s_waitcnt lgkmcnt(0)
	v_add_f32_e32 v9, v4, v2
	v_sub_f32_e32 v2, v2, v4
	v_add_f32_e32 v7, v5, v3
	v_sub_f32_e32 v3, v3, v5
	v_mul_f32_e32 v2, 0.5, v2
	v_mul_f32_e32 v4, 0.5, v7
	;; [unrolled: 1-line block ×3, first 2 shown]
	s_waitcnt vmcnt(0)
	v_mul_f32_e32 v5, v1, v2
	v_fma_f32 v8, v4, v1, v3
	v_fma_f32 v1, v4, v1, -v3
	v_fma_f32 v7, 0.5, v9, v5
	v_fma_f32 v3, v9, 0.5, -v5
	v_fma_f32 v8, -v0, v2, v8
	v_fma_f32 v1, -v0, v2, v1
	v_fmac_f32_e32 v7, v0, v4
	v_fma_f32 v0, -v0, v4, v3
	v_mov_b32_e32 v4, v24
	v_mov_b32_e32 v5, v25
                                        ; implicit-def: $vgpr2_vgpr3
.LBB0_25:
	s_andn2_saveexec_b64 s[4:5], s[4:5]
	s_cbranch_execz .LBB0_27
; %bb.26:
	v_mov_b32_e32 v8, 0
	ds_read_b32 v1, v8 offset:5284
	v_mov_b32_e32 v4, 0
	s_waitcnt lgkmcnt(1)
	v_add_f32_e32 v7, v2, v3
	v_sub_f32_e32 v0, v2, v3
	v_mov_b32_e32 v5, 0
	s_waitcnt lgkmcnt(0)
	v_xor_b32_e32 v1, 0x80000000, v1
	ds_write_b32 v8, v1 offset:5284
	v_mov_b32_e32 v1, 0
.LBB0_27:
	s_or_b64 exec, exec, s[4:5]
	s_waitcnt lgkmcnt(0)
	v_lshlrev_b64 v[2:3], 3, v[4:5]
	v_mov_b32_e32 v4, s7
	v_add_co_u32_e32 v2, vcc, s6, v2
	v_addc_co_u32_e32 v3, vcc, v4, v3, vcc
	global_load_dwordx2 v[4:5], v[2:3], off offset:1320
	global_load_dwordx2 v[9:10], v[2:3], off offset:2640
	;; [unrolled: 1-line block ×3, first 2 shown]
	ds_write2_b32 v31, v7, v8 offset1:1
	ds_write_b64 v6, v[0:1] offset:10560
	ds_read_b64 v[0:1], v31 offset:1320
	ds_read_b64 v[2:3], v6 offset:9240
	v_add_u32_e32 v7, 0x400, v31
	s_waitcnt lgkmcnt(0)
	v_add_f32_e32 v8, v0, v2
	v_sub_f32_e32 v0, v0, v2
	v_add_f32_e32 v13, v1, v3
	v_sub_f32_e32 v1, v1, v3
	v_mul_f32_e32 v0, 0.5, v0
	v_mul_f32_e32 v2, 0.5, v13
	;; [unrolled: 1-line block ×3, first 2 shown]
	s_waitcnt vmcnt(2)
	v_mul_f32_e32 v3, v5, v0
	v_fma_f32 v13, v2, v5, v1
	v_fma_f32 v1, v2, v5, -v1
	v_fma_f32 v5, 0.5, v8, v3
	v_fma_f32 v13, -v4, v0, v13
	v_fma_f32 v3, v8, 0.5, -v3
	v_fmac_f32_e32 v5, v4, v2
	v_fma_f32 v1, -v4, v0, v1
	v_fma_f32 v0, -v4, v2, v3
	ds_write2_b32 v7, v5, v13 offset0:74 offset1:75
	ds_write_b64 v6, v[0:1] offset:9240
	ds_read_b64 v[0:1], v31 offset:2640
	ds_read_b64 v[2:3], v6 offset:7920
	v_add_u32_e32 v4, 0x800, v31
	s_waitcnt lgkmcnt(0)
	v_add_f32_e32 v5, v0, v2
	v_sub_f32_e32 v0, v0, v2
	v_add_f32_e32 v7, v1, v3
	v_sub_f32_e32 v1, v1, v3
	v_mul_f32_e32 v0, 0.5, v0
	v_mul_f32_e32 v2, 0.5, v7
	;; [unrolled: 1-line block ×3, first 2 shown]
	s_waitcnt vmcnt(1)
	v_mul_f32_e32 v3, v10, v0
	v_fma_f32 v7, v2, v10, v1
	v_fma_f32 v8, 0.5, v5, v3
	v_fma_f32 v1, v2, v10, -v1
	v_fma_f32 v7, -v9, v0, v7
	v_fma_f32 v3, v5, 0.5, -v3
	v_fmac_f32_e32 v8, v9, v2
	v_fma_f32 v1, -v9, v0, v1
	v_fma_f32 v0, -v9, v2, v3
	ds_write2_b32 v4, v8, v7 offset0:148 offset1:149
	ds_write_b64 v6, v[0:1] offset:7920
	ds_read_b64 v[0:1], v31 offset:3960
	ds_read_b64 v[2:3], v6 offset:6600
	v_add_u32_e32 v4, 0xc00, v31
	s_waitcnt lgkmcnt(0)
	v_add_f32_e32 v5, v0, v2
	v_sub_f32_e32 v0, v0, v2
	v_add_f32_e32 v7, v1, v3
	v_sub_f32_e32 v1, v1, v3
	v_mul_f32_e32 v0, 0.5, v0
	v_mul_f32_e32 v2, 0.5, v7
	;; [unrolled: 1-line block ×3, first 2 shown]
	s_waitcnt vmcnt(0)
	v_mul_f32_e32 v3, v12, v0
	v_fma_f32 v7, v2, v12, v1
	v_fma_f32 v8, 0.5, v5, v3
	v_fma_f32 v1, v2, v12, -v1
	v_fma_f32 v7, -v11, v0, v7
	v_fma_f32 v3, v5, 0.5, -v3
	v_fmac_f32_e32 v8, v11, v2
	v_fma_f32 v1, -v11, v0, v1
	v_fma_f32 v0, -v11, v2, v3
	ds_write2_b32 v4, v8, v7 offset0:222 offset1:223
	ds_write_b64 v6, v[0:1] offset:6600
	s_waitcnt lgkmcnt(0)
	s_barrier
	s_and_saveexec_b64 s[4:5], s[0:1]
	s_cbranch_execz .LBB0_30
; %bb.28:
	v_mul_lo_u32 v2, s3, v22
	v_mul_lo_u32 v3, s2, v23
	v_mad_u64_u32 v[0:1], s[0:1], s2, v22, 0
	v_mov_b32_e32 v6, s11
	v_lshl_add_u32 v8, v24, 3, 0
	v_add3_u32 v1, v1, v3, v2
	v_lshlrev_b64 v[0:1], 3, v[0:1]
	v_mov_b32_e32 v25, 0
	v_add_co_u32_e32 v0, vcc, s10, v0
	v_addc_co_u32_e32 v9, vcc, v6, v1, vcc
	v_lshlrev_b64 v[6:7], 3, v[20:21]
	ds_read2_b64 v[2:5], v8 offset1:165
	v_add_co_u32_e32 v1, vcc, v0, v6
	v_addc_co_u32_e32 v0, vcc, v9, v7, vcc
	v_lshlrev_b64 v[6:7], 3, v[24:25]
	s_movk_i32 s0, 0xa4
	v_add_co_u32_e32 v6, vcc, v1, v6
	v_addc_co_u32_e32 v7, vcc, v0, v7, vcc
	s_waitcnt lgkmcnt(0)
	global_store_dwordx2 v[6:7], v[2:3], off
	v_add_u32_e32 v2, 0xa5, v24
	v_mov_b32_e32 v3, v25
	v_lshlrev_b64 v[2:3], 3, v[2:3]
	v_add_u32_e32 v6, 0x14a, v24
	v_add_co_u32_e32 v2, vcc, v1, v2
	v_addc_co_u32_e32 v3, vcc, v0, v3, vcc
	global_store_dwordx2 v[2:3], v[4:5], off
	v_add_u32_e32 v2, 0x800, v8
	v_mov_b32_e32 v7, v25
	ds_read2_b64 v[2:5], v2 offset0:74 offset1:239
	v_lshlrev_b64 v[6:7], 3, v[6:7]
	v_add_co_u32_e32 v6, vcc, v1, v6
	v_addc_co_u32_e32 v7, vcc, v0, v7, vcc
	s_waitcnt lgkmcnt(0)
	global_store_dwordx2 v[6:7], v[2:3], off
	v_add_u32_e32 v2, 0x1ef, v24
	v_mov_b32_e32 v3, v25
	v_lshlrev_b64 v[2:3], 3, v[2:3]
	v_add_u32_e32 v6, 0x294, v24
	v_add_co_u32_e32 v2, vcc, v1, v2
	v_addc_co_u32_e32 v3, vcc, v0, v3, vcc
	global_store_dwordx2 v[2:3], v[4:5], off
	v_add_u32_e32 v2, 0x1400, v8
	v_mov_b32_e32 v7, v25
	ds_read2_b64 v[2:5], v2 offset0:20 offset1:185
	v_lshlrev_b64 v[6:7], 3, v[6:7]
	;; [unrolled: 15-line block ×3, first 2 shown]
	v_add_co_u32_e32 v6, vcc, v1, v6
	v_addc_co_u32_e32 v7, vcc, v0, v7, vcc
	s_waitcnt lgkmcnt(0)
	global_store_dwordx2 v[6:7], v[2:3], off
	v_add_u32_e32 v2, 0x483, v24
	v_mov_b32_e32 v3, v25
	v_lshlrev_b64 v[2:3], 3, v[2:3]
	v_add_co_u32_e32 v2, vcc, v1, v2
	v_addc_co_u32_e32 v3, vcc, v0, v3, vcc
	v_cmp_eq_u32_e32 vcc, s0, v24
	global_store_dwordx2 v[2:3], v[4:5], off
	s_and_b64 exec, exec, vcc
	s_cbranch_execz .LBB0_30
; %bb.29:
	ds_read_b64 v[2:3], v25 offset:10560
	v_add_co_u32_e32 v4, vcc, 0x2000, v1
	v_addc_co_u32_e32 v5, vcc, 0, v0, vcc
	s_waitcnt lgkmcnt(0)
	global_store_dwordx2 v[4:5], v[2:3], off offset:2368
.LBB0_30:
	s_endpgm
	.section	.rodata,"a",@progbits
	.p2align	6, 0x0
	.amdhsa_kernel fft_rtc_back_len1320_factors_11_2_3_5_4_wgs_165_tpt_165_sp_op_CI_CI_unitstride_sbrr_R2C_dirReg
		.amdhsa_group_segment_fixed_size 0
		.amdhsa_private_segment_fixed_size 0
		.amdhsa_kernarg_size 104
		.amdhsa_user_sgpr_count 6
		.amdhsa_user_sgpr_private_segment_buffer 1
		.amdhsa_user_sgpr_dispatch_ptr 0
		.amdhsa_user_sgpr_queue_ptr 0
		.amdhsa_user_sgpr_kernarg_segment_ptr 1
		.amdhsa_user_sgpr_dispatch_id 0
		.amdhsa_user_sgpr_flat_scratch_init 0
		.amdhsa_user_sgpr_private_segment_size 0
		.amdhsa_uses_dynamic_stack 0
		.amdhsa_system_sgpr_private_segment_wavefront_offset 0
		.amdhsa_system_sgpr_workgroup_id_x 1
		.amdhsa_system_sgpr_workgroup_id_y 0
		.amdhsa_system_sgpr_workgroup_id_z 0
		.amdhsa_system_sgpr_workgroup_info 0
		.amdhsa_system_vgpr_workitem_id 0
		.amdhsa_next_free_vgpr 91
		.amdhsa_next_free_sgpr 28
		.amdhsa_reserve_vcc 1
		.amdhsa_reserve_flat_scratch 0
		.amdhsa_float_round_mode_32 0
		.amdhsa_float_round_mode_16_64 0
		.amdhsa_float_denorm_mode_32 3
		.amdhsa_float_denorm_mode_16_64 3
		.amdhsa_dx10_clamp 1
		.amdhsa_ieee_mode 1
		.amdhsa_fp16_overflow 0
		.amdhsa_exception_fp_ieee_invalid_op 0
		.amdhsa_exception_fp_denorm_src 0
		.amdhsa_exception_fp_ieee_div_zero 0
		.amdhsa_exception_fp_ieee_overflow 0
		.amdhsa_exception_fp_ieee_underflow 0
		.amdhsa_exception_fp_ieee_inexact 0
		.amdhsa_exception_int_div_zero 0
	.end_amdhsa_kernel
	.text
.Lfunc_end0:
	.size	fft_rtc_back_len1320_factors_11_2_3_5_4_wgs_165_tpt_165_sp_op_CI_CI_unitstride_sbrr_R2C_dirReg, .Lfunc_end0-fft_rtc_back_len1320_factors_11_2_3_5_4_wgs_165_tpt_165_sp_op_CI_CI_unitstride_sbrr_R2C_dirReg
                                        ; -- End function
	.section	.AMDGPU.csdata,"",@progbits
; Kernel info:
; codeLenInByte = 7860
; NumSgprs: 32
; NumVgprs: 91
; ScratchSize: 0
; MemoryBound: 0
; FloatMode: 240
; IeeeMode: 1
; LDSByteSize: 0 bytes/workgroup (compile time only)
; SGPRBlocks: 3
; VGPRBlocks: 22
; NumSGPRsForWavesPerEU: 32
; NumVGPRsForWavesPerEU: 91
; Occupancy: 2
; WaveLimiterHint : 1
; COMPUTE_PGM_RSRC2:SCRATCH_EN: 0
; COMPUTE_PGM_RSRC2:USER_SGPR: 6
; COMPUTE_PGM_RSRC2:TRAP_HANDLER: 0
; COMPUTE_PGM_RSRC2:TGID_X_EN: 1
; COMPUTE_PGM_RSRC2:TGID_Y_EN: 0
; COMPUTE_PGM_RSRC2:TGID_Z_EN: 0
; COMPUTE_PGM_RSRC2:TIDIG_COMP_CNT: 0
	.type	__hip_cuid_8d33c4d2678cbf35,@object ; @__hip_cuid_8d33c4d2678cbf35
	.section	.bss,"aw",@nobits
	.globl	__hip_cuid_8d33c4d2678cbf35
__hip_cuid_8d33c4d2678cbf35:
	.byte	0                               ; 0x0
	.size	__hip_cuid_8d33c4d2678cbf35, 1

	.ident	"AMD clang version 19.0.0git (https://github.com/RadeonOpenCompute/llvm-project roc-6.4.0 25133 c7fe45cf4b819c5991fe208aaa96edf142730f1d)"
	.section	".note.GNU-stack","",@progbits
	.addrsig
	.addrsig_sym __hip_cuid_8d33c4d2678cbf35
	.amdgpu_metadata
---
amdhsa.kernels:
  - .args:
      - .actual_access:  read_only
        .address_space:  global
        .offset:         0
        .size:           8
        .value_kind:     global_buffer
      - .offset:         8
        .size:           8
        .value_kind:     by_value
      - .actual_access:  read_only
        .address_space:  global
        .offset:         16
        .size:           8
        .value_kind:     global_buffer
      - .actual_access:  read_only
        .address_space:  global
        .offset:         24
        .size:           8
        .value_kind:     global_buffer
      - .actual_access:  read_only
        .address_space:  global
        .offset:         32
        .size:           8
        .value_kind:     global_buffer
      - .offset:         40
        .size:           8
        .value_kind:     by_value
      - .actual_access:  read_only
        .address_space:  global
        .offset:         48
        .size:           8
        .value_kind:     global_buffer
      - .actual_access:  read_only
        .address_space:  global
        .offset:         56
        .size:           8
        .value_kind:     global_buffer
      - .offset:         64
        .size:           4
        .value_kind:     by_value
      - .actual_access:  read_only
        .address_space:  global
        .offset:         72
        .size:           8
        .value_kind:     global_buffer
      - .actual_access:  read_only
        .address_space:  global
        .offset:         80
        .size:           8
        .value_kind:     global_buffer
      - .actual_access:  read_only
        .address_space:  global
        .offset:         88
        .size:           8
        .value_kind:     global_buffer
      - .actual_access:  write_only
        .address_space:  global
        .offset:         96
        .size:           8
        .value_kind:     global_buffer
    .group_segment_fixed_size: 0
    .kernarg_segment_align: 8
    .kernarg_segment_size: 104
    .language:       OpenCL C
    .language_version:
      - 2
      - 0
    .max_flat_workgroup_size: 165
    .name:           fft_rtc_back_len1320_factors_11_2_3_5_4_wgs_165_tpt_165_sp_op_CI_CI_unitstride_sbrr_R2C_dirReg
    .private_segment_fixed_size: 0
    .sgpr_count:     32
    .sgpr_spill_count: 0
    .symbol:         fft_rtc_back_len1320_factors_11_2_3_5_4_wgs_165_tpt_165_sp_op_CI_CI_unitstride_sbrr_R2C_dirReg.kd
    .uniform_work_group_size: 1
    .uses_dynamic_stack: false
    .vgpr_count:     91
    .vgpr_spill_count: 0
    .wavefront_size: 64
amdhsa.target:   amdgcn-amd-amdhsa--gfx906
amdhsa.version:
  - 1
  - 2
...

	.end_amdgpu_metadata
